;; amdgpu-corpus repo=ROCm/rocFFT kind=compiled arch=gfx906 opt=O3
	.text
	.amdgcn_target "amdgcn-amd-amdhsa--gfx906"
	.amdhsa_code_object_version 6
	.protected	fft_rtc_fwd_len1760_factors_2_2_2_2_2_11_5_wgs_176_tpt_176_halfLds_sp_op_CI_CI_unitstride_sbrr_C2R_dirReg ; -- Begin function fft_rtc_fwd_len1760_factors_2_2_2_2_2_11_5_wgs_176_tpt_176_halfLds_sp_op_CI_CI_unitstride_sbrr_C2R_dirReg
	.globl	fft_rtc_fwd_len1760_factors_2_2_2_2_2_11_5_wgs_176_tpt_176_halfLds_sp_op_CI_CI_unitstride_sbrr_C2R_dirReg
	.p2align	8
	.type	fft_rtc_fwd_len1760_factors_2_2_2_2_2_11_5_wgs_176_tpt_176_halfLds_sp_op_CI_CI_unitstride_sbrr_C2R_dirReg,@function
fft_rtc_fwd_len1760_factors_2_2_2_2_2_11_5_wgs_176_tpt_176_halfLds_sp_op_CI_CI_unitstride_sbrr_C2R_dirReg: ; @fft_rtc_fwd_len1760_factors_2_2_2_2_2_11_5_wgs_176_tpt_176_halfLds_sp_op_CI_CI_unitstride_sbrr_C2R_dirReg
; %bb.0:
	s_load_dwordx4 s[8:11], s[4:5], 0x58
	s_load_dwordx4 s[12:15], s[4:5], 0x0
	;; [unrolled: 1-line block ×3, first 2 shown]
	v_mul_u32_u24_e32 v1, 0x175, v0
	v_add_u32_sdwa v5, s6, v1 dst_sel:DWORD dst_unused:UNUSED_PAD src0_sel:DWORD src1_sel:WORD_1
	v_mov_b32_e32 v3, 0
	s_waitcnt lgkmcnt(0)
	v_cmp_lt_u64_e64 s[0:1], s[14:15], 2
	v_mov_b32_e32 v1, 0
	v_mov_b32_e32 v6, v3
	s_and_b64 vcc, exec, s[0:1]
	v_mov_b32_e32 v2, 0
	s_cbranch_vccnz .LBB0_8
; %bb.1:
	s_load_dwordx2 s[0:1], s[4:5], 0x10
	s_add_u32 s2, s18, 8
	s_addc_u32 s3, s19, 0
	s_add_u32 s6, s16, 8
	v_mov_b32_e32 v1, 0
	s_addc_u32 s7, s17, 0
	v_mov_b32_e32 v2, 0
	s_waitcnt lgkmcnt(0)
	s_add_u32 s20, s0, 8
	v_mov_b32_e32 v21, v2
	s_addc_u32 s21, s1, 0
	s_mov_b64 s[22:23], 1
	v_mov_b32_e32 v20, v1
.LBB0_2:                                ; =>This Inner Loop Header: Depth=1
	s_load_dwordx2 s[24:25], s[20:21], 0x0
                                        ; implicit-def: $vgpr22_vgpr23
	s_waitcnt lgkmcnt(0)
	v_or_b32_e32 v4, s25, v6
	v_cmp_ne_u64_e32 vcc, 0, v[3:4]
	s_and_saveexec_b64 s[0:1], vcc
	s_xor_b64 s[26:27], exec, s[0:1]
	s_cbranch_execz .LBB0_4
; %bb.3:                                ;   in Loop: Header=BB0_2 Depth=1
	v_cvt_f32_u32_e32 v4, s24
	v_cvt_f32_u32_e32 v7, s25
	s_sub_u32 s0, 0, s24
	s_subb_u32 s1, 0, s25
	v_mac_f32_e32 v4, 0x4f800000, v7
	v_rcp_f32_e32 v4, v4
	v_mul_f32_e32 v4, 0x5f7ffffc, v4
	v_mul_f32_e32 v7, 0x2f800000, v4
	v_trunc_f32_e32 v7, v7
	v_mac_f32_e32 v4, 0xcf800000, v7
	v_cvt_u32_f32_e32 v7, v7
	v_cvt_u32_f32_e32 v4, v4
	v_mul_lo_u32 v8, s0, v7
	v_mul_hi_u32 v9, s0, v4
	v_mul_lo_u32 v11, s1, v4
	v_mul_lo_u32 v10, s0, v4
	v_add_u32_e32 v8, v9, v8
	v_add_u32_e32 v8, v8, v11
	v_mul_hi_u32 v9, v4, v10
	v_mul_lo_u32 v11, v4, v8
	v_mul_hi_u32 v13, v4, v8
	v_mul_hi_u32 v12, v7, v10
	v_mul_lo_u32 v10, v7, v10
	v_mul_hi_u32 v14, v7, v8
	v_add_co_u32_e32 v9, vcc, v9, v11
	v_addc_co_u32_e32 v11, vcc, 0, v13, vcc
	v_mul_lo_u32 v8, v7, v8
	v_add_co_u32_e32 v9, vcc, v9, v10
	v_addc_co_u32_e32 v9, vcc, v11, v12, vcc
	v_addc_co_u32_e32 v10, vcc, 0, v14, vcc
	v_add_co_u32_e32 v8, vcc, v9, v8
	v_addc_co_u32_e32 v9, vcc, 0, v10, vcc
	v_add_co_u32_e32 v4, vcc, v4, v8
	v_addc_co_u32_e32 v7, vcc, v7, v9, vcc
	v_mul_lo_u32 v8, s0, v7
	v_mul_hi_u32 v9, s0, v4
	v_mul_lo_u32 v10, s1, v4
	v_mul_lo_u32 v11, s0, v4
	v_add_u32_e32 v8, v9, v8
	v_add_u32_e32 v8, v8, v10
	v_mul_lo_u32 v12, v4, v8
	v_mul_hi_u32 v13, v4, v11
	v_mul_hi_u32 v14, v4, v8
	v_mul_hi_u32 v10, v7, v11
	v_mul_lo_u32 v11, v7, v11
	v_mul_hi_u32 v9, v7, v8
	v_add_co_u32_e32 v12, vcc, v13, v12
	v_addc_co_u32_e32 v13, vcc, 0, v14, vcc
	v_mul_lo_u32 v8, v7, v8
	v_add_co_u32_e32 v11, vcc, v12, v11
	v_addc_co_u32_e32 v10, vcc, v13, v10, vcc
	v_addc_co_u32_e32 v9, vcc, 0, v9, vcc
	v_add_co_u32_e32 v8, vcc, v10, v8
	v_addc_co_u32_e32 v9, vcc, 0, v9, vcc
	v_add_co_u32_e32 v4, vcc, v4, v8
	v_addc_co_u32_e32 v9, vcc, v7, v9, vcc
	v_mad_u64_u32 v[7:8], s[0:1], v5, v9, 0
	v_mul_hi_u32 v10, v5, v4
	v_add_co_u32_e32 v11, vcc, v10, v7
	v_addc_co_u32_e32 v12, vcc, 0, v8, vcc
	v_mad_u64_u32 v[7:8], s[0:1], v6, v4, 0
	v_mad_u64_u32 v[9:10], s[0:1], v6, v9, 0
	v_add_co_u32_e32 v4, vcc, v11, v7
	v_addc_co_u32_e32 v4, vcc, v12, v8, vcc
	v_addc_co_u32_e32 v7, vcc, 0, v10, vcc
	v_add_co_u32_e32 v4, vcc, v4, v9
	v_addc_co_u32_e32 v9, vcc, 0, v7, vcc
	v_mul_lo_u32 v10, s25, v4
	v_mul_lo_u32 v11, s24, v9
	v_mad_u64_u32 v[7:8], s[0:1], s24, v4, 0
	v_add3_u32 v8, v8, v11, v10
	v_sub_u32_e32 v10, v6, v8
	v_mov_b32_e32 v11, s25
	v_sub_co_u32_e32 v7, vcc, v5, v7
	v_subb_co_u32_e64 v10, s[0:1], v10, v11, vcc
	v_subrev_co_u32_e64 v11, s[0:1], s24, v7
	v_subbrev_co_u32_e64 v10, s[0:1], 0, v10, s[0:1]
	v_cmp_le_u32_e64 s[0:1], s25, v10
	v_cndmask_b32_e64 v12, 0, -1, s[0:1]
	v_cmp_le_u32_e64 s[0:1], s24, v11
	v_cndmask_b32_e64 v11, 0, -1, s[0:1]
	v_cmp_eq_u32_e64 s[0:1], s25, v10
	v_cndmask_b32_e64 v10, v12, v11, s[0:1]
	v_add_co_u32_e64 v11, s[0:1], 2, v4
	v_addc_co_u32_e64 v12, s[0:1], 0, v9, s[0:1]
	v_add_co_u32_e64 v13, s[0:1], 1, v4
	v_addc_co_u32_e64 v14, s[0:1], 0, v9, s[0:1]
	v_subb_co_u32_e32 v8, vcc, v6, v8, vcc
	v_cmp_ne_u32_e64 s[0:1], 0, v10
	v_cmp_le_u32_e32 vcc, s25, v8
	v_cndmask_b32_e64 v10, v14, v12, s[0:1]
	v_cndmask_b32_e64 v12, 0, -1, vcc
	v_cmp_le_u32_e32 vcc, s24, v7
	v_cndmask_b32_e64 v7, 0, -1, vcc
	v_cmp_eq_u32_e32 vcc, s25, v8
	v_cndmask_b32_e32 v7, v12, v7, vcc
	v_cmp_ne_u32_e32 vcc, 0, v7
	v_cndmask_b32_e64 v7, v13, v11, s[0:1]
	v_cndmask_b32_e32 v23, v9, v10, vcc
	v_cndmask_b32_e32 v22, v4, v7, vcc
.LBB0_4:                                ;   in Loop: Header=BB0_2 Depth=1
	s_andn2_saveexec_b64 s[0:1], s[26:27]
	s_cbranch_execz .LBB0_6
; %bb.5:                                ;   in Loop: Header=BB0_2 Depth=1
	v_cvt_f32_u32_e32 v4, s24
	s_sub_i32 s26, 0, s24
	v_mov_b32_e32 v23, v3
	v_rcp_iflag_f32_e32 v4, v4
	v_mul_f32_e32 v4, 0x4f7ffffe, v4
	v_cvt_u32_f32_e32 v4, v4
	v_mul_lo_u32 v7, s26, v4
	v_mul_hi_u32 v7, v4, v7
	v_add_u32_e32 v4, v4, v7
	v_mul_hi_u32 v4, v5, v4
	v_mul_lo_u32 v7, v4, s24
	v_add_u32_e32 v8, 1, v4
	v_sub_u32_e32 v7, v5, v7
	v_subrev_u32_e32 v9, s24, v7
	v_cmp_le_u32_e32 vcc, s24, v7
	v_cndmask_b32_e32 v7, v7, v9, vcc
	v_cndmask_b32_e32 v4, v4, v8, vcc
	v_add_u32_e32 v8, 1, v4
	v_cmp_le_u32_e32 vcc, s24, v7
	v_cndmask_b32_e32 v22, v4, v8, vcc
.LBB0_6:                                ;   in Loop: Header=BB0_2 Depth=1
	s_or_b64 exec, exec, s[0:1]
	v_mul_lo_u32 v4, v23, s24
	v_mul_lo_u32 v9, v22, s25
	v_mad_u64_u32 v[7:8], s[0:1], v22, s24, 0
	s_load_dwordx2 s[0:1], s[6:7], 0x0
	s_load_dwordx2 s[24:25], s[2:3], 0x0
	v_add3_u32 v4, v8, v9, v4
	v_sub_co_u32_e32 v5, vcc, v5, v7
	v_subb_co_u32_e32 v4, vcc, v6, v4, vcc
	s_waitcnt lgkmcnt(0)
	v_mul_lo_u32 v6, s0, v4
	v_mul_lo_u32 v7, s1, v5
	v_mad_u64_u32 v[1:2], s[0:1], s0, v5, v[1:2]
	v_mul_lo_u32 v4, s24, v4
	v_mul_lo_u32 v8, s25, v5
	v_mad_u64_u32 v[20:21], s[0:1], s24, v5, v[20:21]
	s_add_u32 s22, s22, 1
	s_addc_u32 s23, s23, 0
	s_add_u32 s2, s2, 8
	v_add3_u32 v21, v8, v21, v4
	s_addc_u32 s3, s3, 0
	v_mov_b32_e32 v4, s14
	s_add_u32 s6, s6, 8
	v_mov_b32_e32 v5, s15
	s_addc_u32 s7, s7, 0
	v_cmp_ge_u64_e32 vcc, s[22:23], v[4:5]
	s_add_u32 s20, s20, 8
	v_add3_u32 v2, v7, v2, v6
	s_addc_u32 s21, s21, 0
	s_cbranch_vccnz .LBB0_9
; %bb.7:                                ;   in Loop: Header=BB0_2 Depth=1
	v_mov_b32_e32 v5, v22
	v_mov_b32_e32 v6, v23
	s_branch .LBB0_2
.LBB0_8:
	v_mov_b32_e32 v21, v2
	v_mov_b32_e32 v23, v6
	;; [unrolled: 1-line block ×4, first 2 shown]
.LBB0_9:
	s_load_dwordx2 s[4:5], s[4:5], 0x28
	s_lshl_b64 s[6:7], s[14:15], 3
	s_add_u32 s2, s18, s6
	s_addc_u32 s3, s19, s7
                                        ; implicit-def: $vgpr24
	s_waitcnt lgkmcnt(0)
	v_cmp_gt_u64_e64 s[0:1], s[4:5], v[22:23]
	v_cmp_le_u64_e32 vcc, s[4:5], v[22:23]
	s_and_saveexec_b64 s[4:5], vcc
	s_xor_b64 s[4:5], exec, s[4:5]
; %bb.10:
	s_mov_b32 s14, 0x1745d18
	v_mul_hi_u32 v1, v0, s14
	v_mul_u32_u24_e32 v1, 0xb0, v1
	v_sub_u32_e32 v24, v0, v1
                                        ; implicit-def: $vgpr0
                                        ; implicit-def: $vgpr1_vgpr2
; %bb.11:
	s_or_saveexec_b64 s[4:5], s[4:5]
	s_load_dwordx2 s[2:3], s[2:3], 0x0
	s_xor_b64 exec, exec, s[4:5]
	s_cbranch_execz .LBB0_15
; %bb.12:
	s_add_u32 s6, s16, s6
	s_addc_u32 s7, s17, s7
	s_load_dwordx2 s[6:7], s[6:7], 0x0
	s_mov_b32 s14, 0x1745d18
	v_mul_hi_u32 v5, v0, s14
	v_lshlrev_b64 v[1:2], 3, v[1:2]
	s_waitcnt lgkmcnt(0)
	v_mul_lo_u32 v6, s7, v22
	v_mul_lo_u32 v7, s6, v23
	v_mad_u64_u32 v[3:4], s[6:7], s6, v22, 0
	v_mul_u32_u24_e32 v5, 0xb0, v5
	v_sub_u32_e32 v24, v0, v5
	v_add3_u32 v4, v4, v7, v6
	v_lshlrev_b64 v[3:4], 3, v[3:4]
	v_mov_b32_e32 v0, s9
	v_add_co_u32_e32 v3, vcc, s8, v3
	v_addc_co_u32_e32 v0, vcc, v0, v4, vcc
	v_add_co_u32_e32 v1, vcc, v3, v1
	v_addc_co_u32_e32 v0, vcc, v0, v2, vcc
	v_lshlrev_b32_e32 v33, 3, v24
	v_add_co_u32_e32 v2, vcc, v1, v33
	v_addc_co_u32_e32 v3, vcc, 0, v0, vcc
	s_movk_i32 s6, 0x1000
	v_add_co_u32_e32 v4, vcc, s6, v2
	v_addc_co_u32_e32 v5, vcc, 0, v3, vcc
	s_movk_i32 s6, 0x2000
	v_add_co_u32_e32 v8, vcc, s6, v2
	v_addc_co_u32_e32 v9, vcc, 0, v3, vcc
	global_load_dwordx2 v[6:7], v[4:5], off offset:128
	global_load_dwordx2 v[10:11], v[4:5], off offset:1536
	;; [unrolled: 1-line block ×5, first 2 shown]
	v_add_co_u32_e32 v4, vcc, 0x3000, v2
	v_addc_co_u32_e32 v5, vcc, 0, v3, vcc
	global_load_dwordx2 v[18:19], v[2:3], off offset:2816
	global_load_dwordx2 v[25:26], v[2:3], off
	global_load_dwordx2 v[27:28], v[2:3], off offset:1408
	global_load_dwordx2 v[29:30], v[8:9], off offset:3072
	;; [unrolled: 1-line block ×3, first 2 shown]
	s_movk_i32 s6, 0xaf
	v_add_u32_e32 v2, 0, v33
	v_add_u32_e32 v3, 0xa00, v2
	v_cmp_eq_u32_e32 vcc, s6, v24
	v_add_u32_e32 v4, 0x1400, v2
	v_add_u32_e32 v5, 0x2000, v2
	;; [unrolled: 1-line block ×3, first 2 shown]
	s_waitcnt vmcnt(4)
	ds_write2_b64 v3, v[18:19], v[6:7] offset0:32 offset1:208
	ds_write2_b64 v4, v[10:11], v[12:13] offset0:64 offset1:240
	s_waitcnt vmcnt(2)
	ds_write2_b64 v2, v[25:26], v[27:28] offset1:176
	ds_write2_b64 v5, v[14:15], v[16:17] offset0:32 offset1:208
	s_waitcnt vmcnt(0)
	ds_write2_b64 v8, v[29:30], v[31:32] offset1:176
	s_and_saveexec_b64 s[6:7], vcc
	s_cbranch_execz .LBB0_14
; %bb.13:
	v_add_co_u32_e32 v1, vcc, 0x3000, v1
	v_addc_co_u32_e32 v2, vcc, 0, v0, vcc
	global_load_dwordx2 v[0:1], v[1:2], off offset:1792
	v_mov_b32_e32 v2, 0
	v_mov_b32_e32 v24, 0xaf
	s_waitcnt vmcnt(0)
	ds_write_b64 v2, v[0:1] offset:14080
.LBB0_14:
	s_or_b64 exec, exec, s[6:7]
.LBB0_15:
	s_or_b64 exec, exec, s[4:5]
	v_lshlrev_b32_e32 v0, 3, v24
	v_add_u32_e32 v27, 0, v0
	s_waitcnt lgkmcnt(0)
	s_barrier
	v_sub_u32_e32 v4, 0, v0
	ds_read_b32 v5, v27
	ds_read_b32 v6, v4 offset:14080
	s_add_u32 s6, s12, 0x36f0
	s_addc_u32 s7, s13, 0
	v_cmp_ne_u32_e32 vcc, 0, v24
                                        ; implicit-def: $vgpr2_vgpr3
	s_waitcnt lgkmcnt(0)
	v_add_f32_e32 v0, v6, v5
	v_sub_f32_e32 v1, v5, v6
	s_and_saveexec_b64 s[4:5], vcc
	s_xor_b64 s[4:5], exec, s[4:5]
	s_cbranch_execz .LBB0_17
; %bb.16:
	v_mov_b32_e32 v25, 0
	v_lshlrev_b64 v[0:1], 3, v[24:25]
	v_mov_b32_e32 v2, s7
	v_add_co_u32_e32 v0, vcc, s6, v0
	v_addc_co_u32_e32 v1, vcc, v2, v1, vcc
	global_load_dwordx2 v[2:3], v[0:1], off
	ds_read_b32 v0, v4 offset:14084
	ds_read_b32 v1, v27 offset:4
	v_add_f32_e32 v7, v6, v5
	v_sub_f32_e32 v8, v5, v6
	s_waitcnt lgkmcnt(0)
	v_add_f32_e32 v9, v0, v1
	v_sub_f32_e32 v0, v1, v0
	s_waitcnt vmcnt(0)
	v_fma_f32 v10, v8, v3, v7
	v_fma_f32 v1, v9, v3, v0
	v_fma_f32 v5, -v8, v3, v7
	v_fma_f32 v6, v9, v3, -v0
	v_fma_f32 v0, -v2, v9, v10
	v_fmac_f32_e32 v1, v8, v2
	v_fmac_f32_e32 v5, v2, v9
	;; [unrolled: 1-line block ×3, first 2 shown]
	v_mov_b32_e32 v2, v24
	ds_write_b64 v4, v[5:6] offset:14080
	v_mov_b32_e32 v3, v25
.LBB0_17:
	s_andn2_saveexec_b64 s[4:5], s[4:5]
	s_cbranch_execz .LBB0_19
; %bb.18:
	v_mov_b32_e32 v7, 0
	ds_read_b64 v[2:3], v7 offset:7040
	s_waitcnt lgkmcnt(0)
	v_add_f32_e32 v5, v2, v2
	v_mul_f32_e32 v6, -2.0, v3
	v_mov_b32_e32 v2, 0
	v_mov_b32_e32 v3, 0
	ds_write_b64 v7, v[5:6] offset:7040
.LBB0_19:
	s_or_b64 exec, exec, s[4:5]
	v_lshlrev_b64 v[2:3], 3, v[2:3]
	v_mov_b32_e32 v5, s7
	v_add_co_u32_e32 v2, vcc, s6, v2
	v_addc_co_u32_e32 v3, vcc, v5, v3, vcc
	global_load_dwordx2 v[5:6], v[2:3], off offset:1408
	global_load_dwordx2 v[7:8], v[2:3], off offset:2816
	s_movk_i32 s4, 0x1000
	v_add_co_u32_e32 v2, vcc, s4, v2
	v_addc_co_u32_e32 v3, vcc, 0, v3, vcc
	global_load_dwordx2 v[9:10], v[2:3], off offset:128
	global_load_dwordx2 v[11:12], v[2:3], off offset:1536
	ds_write_b64 v27, v[0:1]
	ds_read_b64 v[0:1], v27 offset:1408
	ds_read_b64 v[2:3], v4 offset:12672
	v_add_u32_e32 v25, 0x1400, v27
	v_lshl_add_u32 v19, v24, 3, v27
	v_add_u32_e32 v28, 0xb0, v24
	v_add_u32_e32 v26, 0x160, v24
	s_waitcnt lgkmcnt(0)
	v_add_f32_e32 v13, v0, v2
	v_add_f32_e32 v14, v3, v1
	v_sub_f32_e32 v15, v0, v2
	v_sub_f32_e32 v0, v1, v3
	v_lshl_add_u32 v33, v28, 4, 0
	v_lshl_add_u32 v34, v26, 4, 0
	v_and_b32_e32 v39, 1, v24
	s_movk_i32 s4, 0x1fc
	s_movk_i32 s5, 0x3fc
	;; [unrolled: 1-line block ×4, first 2 shown]
	v_cmp_gt_u32_e32 vcc, s7, v24
	s_waitcnt vmcnt(3)
	v_fma_f32 v16, v15, v6, v13
	v_fma_f32 v1, v14, v6, v0
	v_fma_f32 v2, -v15, v6, v13
	v_fma_f32 v3, v14, v6, -v0
	v_fma_f32 v0, -v5, v14, v16
	v_fmac_f32_e32 v1, v15, v5
	v_fmac_f32_e32 v2, v5, v14
	v_fmac_f32_e32 v3, v15, v5
	ds_write_b64 v27, v[0:1] offset:1408
	ds_write_b64 v4, v[2:3] offset:12672
	ds_read_b64 v[0:1], v27 offset:2816
	ds_read_b64 v[2:3], v4 offset:11264
	s_waitcnt lgkmcnt(0)
	v_add_f32_e32 v5, v0, v2
	v_add_f32_e32 v6, v3, v1
	v_sub_f32_e32 v13, v0, v2
	v_sub_f32_e32 v0, v1, v3
	s_waitcnt vmcnt(2)
	v_fma_f32 v14, v13, v8, v5
	v_fma_f32 v1, v6, v8, v0
	v_fma_f32 v2, -v13, v8, v5
	v_fma_f32 v3, v6, v8, -v0
	v_fma_f32 v0, -v7, v6, v14
	v_fmac_f32_e32 v1, v13, v7
	v_fmac_f32_e32 v2, v7, v6
	;; [unrolled: 1-line block ×3, first 2 shown]
	ds_write_b64 v27, v[0:1] offset:2816
	ds_write_b64 v4, v[2:3] offset:11264
	ds_read_b64 v[5:6], v27 offset:4224
	ds_read_b64 v[7:8], v4 offset:9856
	v_add_u32_e32 v1, 0x2000, v27
	v_add_u32_e32 v0, 0xa00, v27
	;; [unrolled: 1-line block ×3, first 2 shown]
	s_waitcnt lgkmcnt(0)
	v_add_f32_e32 v3, v5, v7
	v_add_f32_e32 v13, v8, v6
	v_sub_f32_e32 v14, v5, v7
	v_sub_f32_e32 v5, v6, v8
	s_waitcnt vmcnt(1)
	v_fma_f32 v15, v14, v10, v3
	v_fma_f32 v6, v13, v10, v5
	v_fma_f32 v7, -v14, v10, v3
	v_fma_f32 v8, v13, v10, -v5
	v_fma_f32 v5, -v9, v13, v15
	v_fmac_f32_e32 v6, v14, v9
	v_fmac_f32_e32 v7, v9, v13
	;; [unrolled: 1-line block ×3, first 2 shown]
	ds_write_b64 v27, v[5:6] offset:4224
	ds_write_b64 v4, v[7:8] offset:9856
	ds_read_b64 v[5:6], v27 offset:5632
	ds_read_b64 v[7:8], v4 offset:8448
	s_waitcnt lgkmcnt(0)
	v_add_f32_e32 v3, v5, v7
	v_add_f32_e32 v9, v8, v6
	v_sub_f32_e32 v10, v5, v7
	v_sub_f32_e32 v5, v6, v8
	s_waitcnt vmcnt(0)
	v_fma_f32 v13, v10, v12, v3
	v_fma_f32 v6, v9, v12, v5
	v_fma_f32 v7, -v10, v12, v3
	v_fma_f32 v8, v9, v12, -v5
	v_fma_f32 v5, -v11, v9, v13
	v_fmac_f32_e32 v6, v10, v11
	v_fmac_f32_e32 v7, v11, v9
	;; [unrolled: 1-line block ×3, first 2 shown]
	ds_write_b64 v27, v[5:6] offset:5632
	ds_write_b64 v4, v[7:8] offset:8448
	s_waitcnt lgkmcnt(0)
	s_barrier
	s_barrier
	ds_read2_b64 v[3:6], v27 offset1:176
	ds_read2_b64 v[7:10], v25 offset0:64 offset1:240
	ds_read2_b64 v[11:14], v1 offset0:32 offset1:208
	;; [unrolled: 1-line block ×3, first 2 shown]
	ds_read2_b64 v[29:32], v2 offset1:176
	s_waitcnt lgkmcnt(0)
	v_sub_f32_e32 v9, v3, v9
	v_sub_f32_e32 v10, v4, v10
	;; [unrolled: 1-line block ×6, first 2 shown]
	v_fma_f32 v3, v3, 2.0, -v9
	v_fma_f32 v4, v4, 2.0, -v10
	s_barrier
	v_sub_f32_e32 v29, v17, v29
	v_sub_f32_e32 v30, v18, v30
	v_fma_f32 v5, v5, 2.0, -v11
	v_fma_f32 v6, v6, 2.0, -v12
	;; [unrolled: 1-line block ×4, first 2 shown]
	ds_write2_b64 v19, v[3:4], v[9:10] offset1:1
	ds_write2_b64 v33, v[5:6], v[11:12] offset1:1
	;; [unrolled: 1-line block ×3, first 2 shown]
	v_add_u32_e32 v9, 0x210, v24
	v_fma_f32 v3, v17, 2.0, -v29
	v_fma_f32 v4, v18, 2.0, -v30
	v_sub_f32_e32 v5, v7, v31
	v_sub_f32_e32 v6, v8, v32
	v_add_u32_e32 v19, 0x2c0, v24
	v_lshl_add_u32 v10, v9, 4, 0
	v_fma_f32 v7, v7, 2.0, -v5
	v_fma_f32 v8, v8, 2.0, -v6
	ds_write2_b64 v10, v[3:4], v[29:30] offset1:1
	v_lshl_add_u32 v3, v19, 4, 0
	ds_write2_b64 v3, v[7:8], v[5:6] offset1:1
	v_lshlrev_b32_e32 v3, 3, v39
	s_waitcnt lgkmcnt(0)
	s_barrier
	global_load_dwordx2 v[37:38], v3, s[12:13]
	v_lshlrev_b32_e32 v3, 1, v24
	v_and_or_b32 v7, v3, s4, v39
	v_lshlrev_b32_e32 v4, 1, v28
	v_lshlrev_b32_e32 v5, 1, v26
	;; [unrolled: 1-line block ×3, first 2 shown]
	v_lshl_add_u32 v26, v7, 3, 0
	v_and_or_b32 v7, v4, s5, v39
	v_and_or_b32 v8, v5, s6, v39
	;; [unrolled: 1-line block ×3, first 2 shown]
	v_lshl_add_u32 v40, v7, 3, 0
	v_lshl_add_u32 v41, v8, 3, 0
	v_lshl_add_u32 v42, v9, 3, 0
	ds_read2_b64 v[7:10], v1 offset0:32 offset1:208
	ds_read2_b64 v[11:14], v2 offset1:176
	ds_read2_b64 v[15:18], v25 offset0:64 offset1:240
	ds_read2_b64 v[29:32], v27 offset1:176
	ds_read2_b64 v[33:36], v0 offset0:32 offset1:208
	s_waitcnt vmcnt(0) lgkmcnt(0)
	s_barrier
	s_movk_i32 s4, 0x1f8
	s_movk_i32 s5, 0x3f8
	v_mul_f32_e32 v43, v38, v8
	v_mul_f32_e32 v49, v38, v14
	;; [unrolled: 1-line block ×10, first 2 shown]
	v_fma_f32 v43, v37, v7, -v43
	v_fma_f32 v7, v37, v17, -v14
	v_fmac_f32_e32 v51, v37, v18
	v_fmac_f32_e32 v44, v37, v8
	v_fma_f32 v45, v37, v9, -v45
	v_fmac_f32_e32 v46, v37, v10
	v_fma_f32 v47, v37, v11, -v47
	v_fmac_f32_e32 v48, v37, v12
	v_sub_f32_e32 v7, v29, v7
	v_sub_f32_e32 v8, v30, v51
	v_fma_f32 v49, v37, v13, -v49
	v_fmac_f32_e32 v50, v38, v13
	v_sub_f32_e32 v9, v31, v43
	v_sub_f32_e32 v10, v32, v44
	;; [unrolled: 1-line block ×6, first 2 shown]
	v_fma_f32 v29, v29, 2.0, -v7
	v_fma_f32 v30, v30, 2.0, -v8
	;; [unrolled: 1-line block ×8, first 2 shown]
	ds_write2_b64 v26, v[29:30], v[7:8] offset1:2
	ds_write2_b64 v40, v[31:32], v[9:10] offset1:2
	;; [unrolled: 1-line block ×4, first 2 shown]
	v_lshlrev_b32_e32 v7, 1, v19
	v_sub_f32_e32 v17, v15, v49
	v_sub_f32_e32 v18, v16, v50
	v_and_or_b32 v8, v7, s6, v39
	v_fma_f32 v15, v15, 2.0, -v17
	v_fma_f32 v16, v16, 2.0, -v18
	v_lshl_add_u32 v8, v8, 3, 0
	ds_write2_b64 v8, v[15:16], v[17:18] offset1:2
	v_and_b32_e32 v8, 3, v24
	v_lshlrev_b32_e32 v9, 3, v8
	s_waitcnt lgkmcnt(0)
	s_barrier
	global_load_dwordx2 v[37:38], v9, s[12:13] offset:16
	s_movk_i32 s6, 0x7f8
	v_and_or_b32 v9, v3, s4, v8
	v_lshl_add_u32 v40, v9, 3, 0
	v_and_or_b32 v9, v4, s5, v8
	v_and_or_b32 v10, v5, s6, v8
	;; [unrolled: 1-line block ×4, first 2 shown]
	v_lshl_add_u32 v41, v9, 3, 0
	v_lshl_add_u32 v42, v10, 3, 0
	;; [unrolled: 1-line block ×4, first 2 shown]
	ds_read2_b64 v[8:11], v1 offset0:32 offset1:208
	ds_read2_b64 v[12:15], v2 offset1:176
	ds_read2_b64 v[16:19], v25 offset0:64 offset1:240
	ds_read2_b64 v[29:32], v27 offset1:176
	ds_read2_b64 v[33:36], v0 offset0:32 offset1:208
	v_and_b32_e32 v26, 7, v24
	v_lshlrev_b32_e32 v39, 3, v26
	s_waitcnt vmcnt(0) lgkmcnt(0)
	s_barrier
	s_movk_i32 s4, 0x1f0
	s_movk_i32 s5, 0x3f0
	;; [unrolled: 1-line block ×3, first 2 shown]
	v_mul_f32_e32 v45, v38, v9
	v_mul_f32_e32 v51, v38, v15
	v_mul_f32_e32 v52, v37, v15
	v_mul_f32_e32 v15, v38, v19
	v_mul_f32_e32 v53, v38, v18
	v_mul_f32_e32 v46, v38, v8
	v_mul_f32_e32 v47, v38, v11
	v_mul_f32_e32 v48, v38, v10
	v_mul_f32_e32 v49, v38, v13
	v_mul_f32_e32 v50, v38, v12
	v_fma_f32 v45, v37, v8, -v45
	v_fma_f32 v8, v37, v18, -v15
	v_fmac_f32_e32 v53, v37, v19
	v_fmac_f32_e32 v46, v37, v9
	v_fma_f32 v47, v37, v10, -v47
	v_fmac_f32_e32 v48, v37, v11
	v_fma_f32 v49, v37, v12, -v49
	;; [unrolled: 2-line block ×3, first 2 shown]
	v_fmac_f32_e32 v52, v38, v14
	v_sub_f32_e32 v8, v29, v8
	v_sub_f32_e32 v9, v30, v53
	;; [unrolled: 1-line block ×10, first 2 shown]
	v_fma_f32 v29, v29, 2.0, -v8
	v_fma_f32 v30, v30, 2.0, -v9
	;; [unrolled: 1-line block ×10, first 2 shown]
	ds_write2_b64 v40, v[29:30], v[8:9] offset1:4
	ds_write2_b64 v41, v[31:32], v[10:11] offset1:4
	ds_write2_b64 v42, v[33:34], v[12:13] offset1:4
	ds_write2_b64 v43, v[35:36], v[14:15] offset1:4
	ds_write2_b64 v44, v[16:17], v[18:19] offset1:4
	s_waitcnt lgkmcnt(0)
	s_barrier
	global_load_dwordx2 v[37:38], v39, s[12:13] offset:48
	v_and_or_b32 v8, v3, s4, v26
	v_lshl_add_u32 v41, v8, 3, 0
	v_and_or_b32 v8, v4, s5, v26
	v_and_or_b32 v9, v5, s6, v26
	;; [unrolled: 1-line block ×4, first 2 shown]
	v_lshl_add_u32 v26, v8, 3, 0
	v_lshl_add_u32 v42, v9, 3, 0
	;; [unrolled: 1-line block ×4, first 2 shown]
	ds_read2_b64 v[8:11], v1 offset0:32 offset1:208
	ds_read2_b64 v[12:15], v2 offset1:176
	ds_read2_b64 v[16:19], v25 offset0:64 offset1:240
	ds_read2_b64 v[29:32], v27 offset1:176
	ds_read2_b64 v[33:36], v0 offset0:32 offset1:208
	v_and_b32_e32 v39, 15, v24
	v_lshlrev_b32_e32 v40, 3, v39
	s_waitcnt vmcnt(0) lgkmcnt(0)
	s_barrier
	s_movk_i32 s4, 0x1e0
	s_movk_i32 s5, 0x3e0
	;; [unrolled: 1-line block ×3, first 2 shown]
	v_and_or_b32 v3, v3, s4, v39
	v_and_or_b32 v4, v4, s5, v39
	;; [unrolled: 1-line block ×5, first 2 shown]
	v_lshl_add_u32 v39, v6, 3, 0
	v_mul_f32_e32 v45, v38, v9
	v_mul_f32_e32 v51, v38, v15
	;; [unrolled: 1-line block ×10, first 2 shown]
	v_fma_f32 v45, v37, v8, -v45
	v_fma_f32 v8, v37, v18, -v15
	v_fmac_f32_e32 v53, v37, v19
	v_fmac_f32_e32 v46, v37, v9
	v_fma_f32 v47, v37, v10, -v47
	v_fmac_f32_e32 v48, v37, v11
	v_fma_f32 v49, v37, v12, -v49
	;; [unrolled: 2-line block ×3, first 2 shown]
	v_fmac_f32_e32 v52, v38, v14
	v_sub_f32_e32 v8, v29, v8
	v_sub_f32_e32 v9, v30, v53
	;; [unrolled: 1-line block ×10, first 2 shown]
	v_fma_f32 v29, v29, 2.0, -v8
	v_fma_f32 v30, v30, 2.0, -v9
	;; [unrolled: 1-line block ×10, first 2 shown]
	ds_write2_b64 v41, v[29:30], v[8:9] offset1:8
	ds_write2_b64 v26, v[31:32], v[10:11] offset1:8
	;; [unrolled: 1-line block ×5, first 2 shown]
	s_waitcnt lgkmcnt(0)
	s_barrier
	global_load_dwordx2 v[11:12], v40, s[12:13] offset:112
	v_lshl_add_u32 v26, v3, 3, 0
	v_lshl_add_u32 v37, v4, 3, 0
	;; [unrolled: 1-line block ×4, first 2 shown]
	ds_read2_b64 v[3:6], v1 offset0:32 offset1:208
	ds_read2_b64 v[7:10], v2 offset1:176
	ds_read2_b64 v[16:19], v25 offset0:64 offset1:240
	ds_read2_b64 v[29:32], v27 offset1:176
	ds_read2_b64 v[33:36], v0 offset0:32 offset1:208
	s_waitcnt vmcnt(0) lgkmcnt(0)
	s_barrier
	v_mul_f32_e32 v0, v12, v4
	v_mul_f32_e32 v1, v12, v3
	;; [unrolled: 1-line block ×10, first 2 shown]
	v_fma_f32 v0, v11, v3, -v0
	v_fmac_f32_e32 v1, v11, v4
	v_fma_f32 v4, v11, v5, -v2
	v_fmac_f32_e32 v13, v11, v6
	;; [unrolled: 2-line block ×5, first 2 shown]
	v_sub_f32_e32 v2, v29, v2
	v_sub_f32_e32 v3, v30, v43
	;; [unrolled: 1-line block ×10, first 2 shown]
	v_fma_f32 v0, v29, 2.0, -v2
	v_fma_f32 v1, v30, 2.0, -v3
	v_fma_f32 v8, v31, 2.0, -v10
	v_fma_f32 v9, v32, 2.0, -v11
	v_fma_f32 v4, v33, 2.0, -v6
	v_fma_f32 v5, v34, 2.0, -v7
	v_fma_f32 v12, v35, 2.0, -v14
	v_fma_f32 v13, v36, 2.0, -v15
	v_fma_f32 v16, v16, 2.0, -v18
	v_fma_f32 v17, v17, 2.0, -v19
	ds_write2_b64 v26, v[0:1], v[2:3] offset1:16
	ds_write2_b64 v37, v[8:9], v[10:11] offset1:16
	;; [unrolled: 1-line block ×5, first 2 shown]
	s_waitcnt lgkmcnt(0)
	s_barrier
	s_waitcnt lgkmcnt(0)
                                        ; implicit-def: $vgpr26
	s_and_saveexec_b64 s[4:5], vcc
	s_cbranch_execz .LBB0_21
; %bb.20:
	v_add_u32_e32 v4, 0x800, v27
	v_add_u32_e32 v12, 0x1c00, v27
	;; [unrolled: 1-line block ×3, first 2 shown]
	ds_read2_b64 v[0:3], v27 offset1:160
	ds_read2_b64 v[8:11], v4 offset0:64 offset1:224
	ds_read2_b64 v[4:7], v25 offset1:160
	ds_read2_b64 v[12:15], v12 offset0:64 offset1:224
	ds_read2_b64 v[16:19], v16 offset1:160
	ds_read_b64 v[25:26], v27 offset:12800
.LBB0_21:
	s_or_b64 exec, exec, s[4:5]
	s_waitcnt lgkmcnt(0)
	s_barrier
	s_and_saveexec_b64 s[4:5], vcc
	s_cbranch_execz .LBB0_23
; %bb.22:
	v_and_b32_e32 v29, 31, v24
	v_mul_u32_u24_e32 v30, 10, v29
	v_lshlrev_b32_e32 v50, 3, v30
	global_load_dwordx4 v[30:33], v50, s[12:13] offset:240
	global_load_dwordx4 v[34:37], v50, s[12:13] offset:304
	global_load_dwordx4 v[38:41], v50, s[12:13] offset:256
	global_load_dwordx4 v[42:45], v50, s[12:13] offset:288
	global_load_dwordx4 v[46:49], v50, s[12:13] offset:272
	s_mov_b32 s6, 0xbf27a4f4
	s_mov_b32 s7, 0x3ed4b147
	;; [unrolled: 1-line block ×5, first 2 shown]
	s_waitcnt vmcnt(4)
	v_mul_f32_e32 v50, v2, v31
	v_mul_f32_e32 v31, v3, v31
	s_waitcnt vmcnt(3)
	v_mul_f32_e32 v52, v25, v37
	v_mul_f32_e32 v37, v26, v37
	s_waitcnt vmcnt(1)
	v_mul_f32_e32 v55, v16, v45
	v_mul_f32_e32 v56, v4, v41
	v_mul_f32_e32 v41, v5, v41
	v_fmac_f32_e32 v50, v3, v30
	v_fma_f32 v2, v2, v30, -v31
	v_fmac_f32_e32 v52, v26, v36
	v_fma_f32 v25, v25, v36, -v37
	v_mul_f32_e32 v51, v8, v33
	v_mul_f32_e32 v33, v9, v33
	;; [unrolled: 1-line block ×6, first 2 shown]
	s_waitcnt vmcnt(0)
	v_mul_f32_e32 v58, v6, v47
	v_mul_f32_e32 v59, v12, v49
	;; [unrolled: 1-line block ×3, first 2 shown]
	v_fmac_f32_e32 v55, v17, v44
	v_fmac_f32_e32 v56, v5, v40
	v_fma_f32 v17, v4, v40, -v41
	v_add_f32_e32 v3, v50, v52
	v_sub_f32_e32 v4, v2, v25
	v_sub_f32_e32 v5, v50, v52
	v_mul_f32_e32 v35, v19, v35
	v_mul_f32_e32 v57, v14, v43
	;; [unrolled: 1-line block ×3, first 2 shown]
	v_fmac_f32_e32 v51, v9, v32
	v_fma_f32 v30, v8, v32, -v33
	v_fmac_f32_e32 v53, v19, v34
	v_fmac_f32_e32 v54, v11, v38
	v_fma_f32 v19, v10, v38, -v39
	v_fmac_f32_e32 v58, v7, v46
	v_fmac_f32_e32 v59, v13, v48
	v_fma_f32 v26, v12, v48, -v49
	v_mul_f32_e32 v7, 0xbe11bafb, v3
	v_mul_f32_e32 v8, 0xbf75a155, v3
	;; [unrolled: 1-line block ×8, first 2 shown]
	v_fma_f32 v18, v18, v34, -v35
	v_fmac_f32_e32 v57, v15, v42
	v_fma_f32 v15, v6, v46, -v47
	v_add_f32_e32 v6, v2, v25
	v_mul_f32_e32 v31, 0xbf4178ce, v5
	v_mul_f32_e32 v32, 0xbf68dda4, v5
	;; [unrolled: 1-line block ×3, first 2 shown]
	v_mov_b32_e32 v33, v7
	v_mov_b32_e32 v34, v8
	;; [unrolled: 1-line block ×3, first 2 shown]
	v_fma_f32 v9, v3, s6, -v9
	v_mov_b32_e32 v36, v10
	v_mov_b32_e32 v37, v11
	;; [unrolled: 1-line block ×4, first 2 shown]
	v_add_f32_e32 v49, v51, v53
	v_fma_f32 v16, v16, v44, -v45
	v_fmac_f32_e32 v8, 0xbe903f40, v4
	v_fmac_f32_e32 v7, 0xbf7d64f0, v4
	v_fma_f32 v10, v3, s7, -v10
	v_fma_f32 v11, v3, s8, -v11
	;; [unrolled: 1-line block ×5, first 2 shown]
	v_fmac_f32_e32 v33, 0x3f7d64f0, v4
	v_fmac_f32_e32 v34, 0x3e903f40, v4
	;; [unrolled: 1-line block ×8, first 2 shown]
	v_fma_f32 v3, v6, s7, -v32
	v_fmac_f32_e32 v32, 0x3ed4b147, v6
	v_fma_f32 v4, v6, s8, -v5
	v_fmac_f32_e32 v5, 0x3f575c64, v6
	v_add_f32_e32 v45, v1, v9
	v_mul_f32_e32 v9, 0xbf75a155, v49
	v_add_f32_e32 v60, v54, v55
	v_fma_f32 v14, v14, v42, -v43
	v_add_f32_e32 v6, v1, v33
	v_add_f32_e32 v33, v0, v39
	;; [unrolled: 1-line block ×14, first 2 shown]
	v_sub_f32_e32 v50, v30, v18
	v_mov_b32_e32 v0, v9
	v_mul_f32_e32 v10, 0x3ed4b147, v60
	v_add_f32_e32 v34, v1, v34
	v_add_f32_e32 v8, v1, v8
	;; [unrolled: 1-line block ×7, first 2 shown]
	v_fmac_f32_e32 v0, 0xbe903f40, v50
	v_sub_f32_e32 v61, v19, v16
	v_mov_b32_e32 v1, v10
	v_add_f32_e32 v62, v56, v57
	v_add_f32_e32 v0, v0, v6
	v_fmac_f32_e32 v1, 0xbf68dda4, v61
	v_mul_f32_e32 v11, 0x3f575c64, v62
	v_add_f32_e32 v0, v1, v0
	v_sub_f32_e32 v63, v17, v14
	v_mov_b32_e32 v1, v11
	v_sub_f32_e32 v65, v51, v53
	v_fmac_f32_e32 v1, 0x3f0a6770, v63
	v_mul_f32_e32 v66, 0x3e903f40, v65
	v_add_f32_e32 v0, v1, v0
	v_add_f32_e32 v64, v30, v18
	v_mov_b32_e32 v1, v66
	v_sub_f32_e32 v67, v54, v55
	v_fmac_f32_e32 v1, 0xbf75a155, v64
	v_mul_f32_e32 v68, 0x3f68dda4, v67
	v_add_f32_e32 v1, v1, v33
	v_add_f32_e32 v33, v19, v16
	;; [unrolled: 6-line block ×3, first 2 shown]
	v_mov_b32_e32 v2, v71
	v_add_f32_e32 v72, v58, v59
	v_fmac_f32_e32 v2, 0x3f575c64, v69
	v_mul_f32_e32 v73, 0xbf27a4f4, v72
	v_add_f32_e32 v2, v2, v1
	v_sub_f32_e32 v74, v15, v26
	v_mov_b32_e32 v1, v73
	v_sub_f32_e32 v76, v58, v59
	v_fmac_f32_e32 v1, 0x3f4178ce, v74
	v_mul_f32_e32 v77, 0xbf4178ce, v76
	v_add_f32_e32 v1, v1, v0
	v_add_f32_e32 v75, v15, v26
	v_mov_b32_e32 v0, v77
	v_fmac_f32_e32 v0, 0xbf27a4f4, v75
	v_mul_f32_e32 v4, 0x3f575c64, v49
	v_add_f32_e32 v0, v0, v2
	v_mov_b32_e32 v2, v4
	v_mul_f32_e32 v5, 0xbf27a4f4, v60
	v_fmac_f32_e32 v2, 0xbf0a6770, v50
	v_mov_b32_e32 v3, v5
	v_add_f32_e32 v2, v2, v34
	v_fmac_f32_e32 v3, 0x3f4178ce, v61
	v_mul_f32_e32 v6, 0x3ed4b147, v62
	v_add_f32_e32 v2, v3, v2
	v_mov_b32_e32 v3, v6
	v_fmac_f32_e32 v3, 0xbf68dda4, v63
	v_mul_f32_e32 v7, 0x3f0a6770, v65
	v_add_f32_e32 v2, v3, v2
	v_mov_b32_e32 v3, v7
	;; [unrolled: 4-line block ×3, first 2 shown]
	v_fmac_f32_e32 v38, 0xbf27a4f4, v33
	v_fmac_f32_e32 v4, 0x3f0a6770, v50
	v_add_f32_e32 v3, v38, v3
	v_mul_f32_e32 v38, 0x3f68dda4, v70
	v_add_f32_e32 v4, v4, v8
	v_fmac_f32_e32 v5, 0xbf4178ce, v61
	v_mov_b32_e32 v78, v38
	v_add_f32_e32 v4, v5, v4
	v_fmac_f32_e32 v6, 0x3f68dda4, v63
	v_fma_f32 v5, v64, s8, -v7
	v_fmac_f32_e32 v78, 0x3ed4b147, v69
	v_mul_f32_e32 v79, 0xbe11bafb, v72
	v_add_f32_e32 v4, v6, v4
	v_add_f32_e32 v5, v5, v13
	v_fma_f32 v6, v33, s6, -v34
	v_add_f32_e32 v78, v78, v3
	v_mov_b32_e32 v3, v79
	v_mul_f32_e32 v80, 0xbf7d64f0, v76
	v_add_f32_e32 v5, v6, v5
	v_fma_f32 v6, v69, s7, -v38
	v_fmac_f32_e32 v79, 0xbf7d64f0, v74
	v_add_f32_e32 v6, v6, v5
	v_add_f32_e32 v5, v79, v4
	v_fma_f32 v4, v75, s14, -v80
	v_mul_f32_e32 v34, 0x3f7d64f0, v50
	v_add_f32_e32 v4, v4, v6
	v_mov_b32_e32 v6, v34
	v_fmac_f32_e32 v6, 0xbe11bafb, v49
	v_add_f32_e32 v6, v6, v35
	v_mul_f32_e32 v35, 0xbf0a6770, v61
	v_fmac_f32_e32 v3, 0x3f7d64f0, v74
	v_mov_b32_e32 v7, v35
	v_add_f32_e32 v3, v3, v2
	v_mov_b32_e32 v2, v80
	v_fmac_f32_e32 v7, 0x3f575c64, v60
	v_mul_f32_e32 v38, 0xbe903f40, v63
	v_fmac_f32_e32 v2, 0xbe11bafb, v75
	v_add_f32_e32 v6, v7, v6
	v_mov_b32_e32 v7, v38
	v_add_f32_e32 v2, v2, v78
	v_fmac_f32_e32 v7, 0xbf75a155, v62
	v_mul_f32_e32 v78, 0x3f7d64f0, v65
	v_add_f32_e32 v6, v7, v6
	v_fma_f32 v7, v64, s14, -v78
	v_add_f32_e32 v7, v7, v39
	v_mul_f32_e32 v39, 0xbf0a6770, v67
	v_fma_f32 v8, v33, s8, -v39
	v_mul_f32_e32 v79, 0xbe903f40, v70
	v_add_f32_e32 v7, v8, v7
	v_fma_f32 v8, v69, s9, -v79
	v_mul_f32_e32 v80, 0x3f68dda4, v74
	v_add_f32_e32 v8, v8, v7
	v_mov_b32_e32 v7, v80
	v_fmac_f32_e32 v7, 0x3ed4b147, v72
	v_mul_f32_e32 v81, 0x3f68dda4, v76
	v_add_f32_e32 v7, v7, v6
	v_fma_f32 v6, v75, s7, -v81
	v_fmac_f32_e32 v9, 0x3e903f40, v50
	v_add_f32_e32 v6, v6, v8
	v_add_f32_e32 v8, v9, v40
	v_fmac_f32_e32 v10, 0x3f68dda4, v61
	v_fma_f32 v9, v64, s9, -v66
	v_add_f32_e32 v8, v10, v8
	v_fmac_f32_e32 v11, 0xbf0a6770, v63
	v_add_f32_e32 v9, v9, v12
	v_fma_f32 v10, v33, s7, -v68
	v_add_f32_e32 v8, v11, v8
	v_add_f32_e32 v9, v10, v9
	v_fma_f32 v10, v69, s8, -v71
	v_fmac_f32_e32 v73, 0xbf4178ce, v74
	v_add_f32_e32 v10, v10, v9
	v_add_f32_e32 v9, v73, v8
	v_fma_f32 v8, v75, s6, -v77
	v_mul_f32_e32 v40, 0xbf4178ce, v50
	v_add_f32_e32 v8, v8, v10
	v_mov_b32_e32 v10, v40
	v_fmac_f32_e32 v10, 0xbf27a4f4, v49
	v_add_f32_e32 v10, v10, v36
	v_mul_f32_e32 v36, 0x3e903f40, v61
	v_mov_b32_e32 v11, v36
	v_fmac_f32_e32 v11, 0xbf75a155, v60
	v_mul_f32_e32 v66, 0x3f7d64f0, v63
	v_add_f32_e32 v10, v11, v10
	v_mov_b32_e32 v11, v66
	v_fmac_f32_e32 v11, 0xbe11bafb, v62
	v_mul_f32_e32 v68, 0xbf4178ce, v65
	v_add_f32_e32 v30, v44, v30
	v_add_f32_e32 v10, v11, v10
	v_fma_f32 v11, v64, s6, -v68
	v_add_f32_e32 v19, v30, v19
	v_add_f32_e32 v11, v11, v41
	v_mul_f32_e32 v41, 0x3e903f40, v67
	v_add_f32_e32 v17, v19, v17
	v_fma_f32 v12, v33, s9, -v41
	v_mul_f32_e32 v71, 0x3f7d64f0, v70
	v_add_f32_e32 v15, v17, v15
	v_add_f32_e32 v11, v12, v11
	v_fma_f32 v12, v69, s14, -v71
	v_mul_f32_e32 v73, 0x3f0a6770, v74
	v_add_f32_e32 v15, v15, v26
	v_add_f32_e32 v12, v12, v11
	v_mov_b32_e32 v11, v73
	v_add_f32_e32 v14, v15, v14
	v_fmac_f32_e32 v11, 0x3f575c64, v72
	v_mul_f32_e32 v77, 0x3f0a6770, v76
	v_add_f32_e32 v14, v14, v16
	v_fma_f32 v16, v49, s14, -v34
	v_add_f32_e32 v11, v11, v10
	v_fma_f32 v10, v75, s8, -v77
	v_mul_f32_e32 v50, 0xbf68dda4, v50
	v_add_f32_e32 v16, v16, v45
	v_fma_f32 v17, v60, s8, -v35
	v_add_f32_e32 v10, v10, v12
	v_mov_b32_e32 v12, v50
	v_add_f32_e32 v16, v17, v16
	v_fma_f32 v17, v62, s9, -v38
	v_fmac_f32_e32 v78, 0xbe11bafb, v64
	v_fmac_f32_e32 v12, 0x3ed4b147, v49
	v_add_f32_e32 v16, v17, v16
	v_add_f32_e32 v17, v78, v31
	v_fmac_f32_e32 v39, 0x3f575c64, v33
	v_add_f32_e32 v12, v12, v37
	v_mul_f32_e32 v37, 0xbf7d64f0, v61
	v_add_f32_e32 v17, v39, v17
	v_fmac_f32_e32 v79, 0xbf75a155, v69
	v_mov_b32_e32 v13, v37
	v_add_f32_e32 v14, v14, v18
	v_add_f32_e32 v18, v79, v17
	v_fma_f32 v17, v72, s7, -v80
	v_fmac_f32_e32 v81, 0x3ed4b147, v75
	v_fmac_f32_e32 v13, 0xbe11bafb, v60
	v_mul_f32_e32 v61, 0xbf4178ce, v63
	v_add_f32_e32 v17, v17, v16
	v_add_f32_e32 v16, v81, v18
	v_fma_f32 v18, v49, s6, -v40
	v_add_f32_e32 v12, v13, v12
	v_mov_b32_e32 v13, v61
	v_add_f32_e32 v18, v18, v46
	v_fma_f32 v19, v60, s9, -v36
	v_fmac_f32_e32 v13, 0xbf27a4f4, v62
	v_mul_f32_e32 v63, 0xbf68dda4, v65
	v_add_f32_e32 v18, v19, v18
	v_fma_f32 v19, v62, s14, -v66
	v_fmac_f32_e32 v68, 0xbf27a4f4, v64
	v_add_f32_e32 v12, v13, v12
	v_fma_f32 v13, v64, s7, -v63
	v_add_f32_e32 v43, v43, v51
	v_add_f32_e32 v18, v19, v18
	;; [unrolled: 1-line block ×3, first 2 shown]
	v_fmac_f32_e32 v41, 0xbf75a155, v33
	v_add_f32_e32 v13, v13, v42
	v_mul_f32_e32 v42, 0xbf7d64f0, v67
	v_add_f32_e32 v43, v43, v54
	v_add_f32_e32 v19, v41, v19
	v_fmac_f32_e32 v71, 0xbe11bafb, v69
	v_fma_f32 v65, v33, s14, -v42
	v_add_f32_e32 v43, v43, v56
	v_add_f32_e32 v14, v14, v25
	;; [unrolled: 1-line block ×3, first 2 shown]
	v_fma_f32 v19, v72, s8, -v73
	v_fmac_f32_e32 v77, 0x3f575c64, v75
	v_add_f32_e32 v13, v65, v13
	v_mul_f32_e32 v65, 0xbf4178ce, v70
	v_add_f32_e32 v43, v43, v58
	v_add_f32_e32 v19, v19, v18
	;; [unrolled: 1-line block ×3, first 2 shown]
	v_fma_f32 v25, v49, s7, -v50
	v_fma_f32 v67, v69, s6, -v65
	v_mul_f32_e32 v70, 0xbe903f40, v74
	v_add_f32_e32 v43, v43, v59
	v_add_f32_e32 v25, v25, v47
	v_fma_f32 v26, v60, s14, -v37
	v_add_f32_e32 v67, v67, v13
	v_mov_b32_e32 v13, v70
	v_add_f32_e32 v43, v43, v57
	v_add_f32_e32 v25, v26, v25
	v_fma_f32 v26, v62, s6, -v61
	v_lshrrev_b32_e32 v30, 5, v24
	v_fmac_f32_e32 v13, 0xbf75a155, v72
	v_mul_f32_e32 v74, 0xbe903f40, v76
	v_add_f32_e32 v43, v43, v55
	v_add_f32_e32 v25, v26, v25
	v_fma_f32 v26, v72, s9, -v70
	v_fmac_f32_e32 v63, 0x3ed4b147, v64
	v_mul_u32_u24_e32 v30, 0x160, v30
	v_add_f32_e32 v13, v13, v12
	v_fma_f32 v12, v75, s9, -v74
	v_add_f32_e32 v43, v43, v53
	v_add_f32_e32 v26, v26, v25
	;; [unrolled: 1-line block ×3, first 2 shown]
	v_fmac_f32_e32 v42, 0xbe11bafb, v33
	v_or_b32_e32 v29, v30, v29
	v_add_f32_e32 v12, v12, v67
	v_add_f32_e32 v15, v43, v52
	;; [unrolled: 1-line block ×3, first 2 shown]
	v_fmac_f32_e32 v65, 0xbf27a4f4, v69
	v_lshl_add_u32 v29, v29, 3, 0
	v_add_f32_e32 v25, v65, v25
	v_fmac_f32_e32 v74, 0xbf75a155, v75
	ds_write2_b64 v29, v[14:15], v[12:13] offset1:32
	ds_write2_b64 v29, v[10:11], v[8:9] offset0:64 offset1:96
	ds_write2_b64 v29, v[6:7], v[4:5] offset0:128 offset1:160
	;; [unrolled: 1-line block ×3, first 2 shown]
	v_add_u32_e32 v2, 0x800, v29
	v_add_f32_e32 v25, v74, v25
	ds_write2_b64 v2, v[0:1], v[18:19] offset1:32
	ds_write_b64 v29, v[25:26] offset:2560
.LBB0_23:
	s_or_b64 exec, exec, s[4:5]
	v_lshlrev_b32_e32 v0, 2, v24
	v_mov_b32_e32 v1, 0
	v_lshlrev_b64 v[2:3], 3, v[0:1]
	v_mov_b32_e32 v12, s13
	v_add_co_u32_e32 v10, vcc, s12, v2
	v_addc_co_u32_e32 v11, vcc, v12, v3, vcc
	v_lshlrev_b32_e32 v0, 2, v28
	s_waitcnt lgkmcnt(0)
	s_barrier
	global_load_dwordx4 v[2:5], v[10:11], off offset:2800
	global_load_dwordx4 v[6:9], v[10:11], off offset:2816
	v_lshlrev_b64 v[10:11], 3, v[0:1]
	v_add_u32_e32 v0, 0xa00, v27
	v_add_co_u32_e32 v18, vcc, s12, v10
	v_addc_co_u32_e32 v19, vcc, v12, v11, vcc
	global_load_dwordx4 v[10:13], v[18:19], off offset:2800
	global_load_dwordx4 v[14:17], v[18:19], off offset:2816
	v_add_u32_e32 v25, 0x1400, v27
	ds_read2_b64 v[32:35], v0 offset0:32 offset1:208
	ds_read2_b64 v[28:31], v27 offset1:176
	v_add_u32_e32 v26, 0x2000, v27
	v_add_u32_e32 v48, 0x2c00, v27
	ds_read2_b64 v[36:39], v25 offset0:64 offset1:240
	ds_read2_b64 v[40:43], v26 offset0:32 offset1:208
	ds_read2_b64 v[44:47], v48 offset1:176
	s_waitcnt vmcnt(0) lgkmcnt(0)
	s_barrier
	v_mul_f32_e32 v18, v3, v33
	v_mul_f32_e32 v19, v3, v32
	v_mul_f32_e32 v3, v5, v37
	v_mul_f32_e32 v49, v5, v36
	v_mul_f32_e32 v5, v7, v41
	v_mul_f32_e32 v50, v7, v40
	v_mul_f32_e32 v7, v9, v45
	v_mul_f32_e32 v51, v9, v44
	v_fma_f32 v9, v2, v32, -v18
	v_fmac_f32_e32 v19, v2, v33
	v_fma_f32 v18, v4, v36, -v3
	v_fma_f32 v5, v6, v40, -v5
	v_mul_f32_e32 v2, v11, v35
	v_mul_f32_e32 v3, v39, v13
	v_fmac_f32_e32 v49, v4, v37
	v_fmac_f32_e32 v50, v6, v41
	v_fma_f32 v7, v8, v44, -v7
	v_mul_f32_e32 v32, v11, v34
	v_mul_f32_e32 v4, v43, v15
	;; [unrolled: 1-line block ×5, first 2 shown]
	v_fma_f32 v17, v10, v34, -v2
	v_fma_f32 v34, v38, v12, -v3
	v_add_f32_e32 v2, v28, v9
	v_add_f32_e32 v3, v18, v5
	v_fmac_f32_e32 v51, v8, v45
	v_mul_f32_e32 v33, v38, v13
	v_fmac_f32_e32 v32, v10, v35
	v_fma_f32 v35, v42, v14, -v4
	v_fmac_f32_e32 v36, v43, v14
	v_fma_f32 v38, v46, v16, -v6
	v_sub_f32_e32 v4, v9, v18
	v_sub_f32_e32 v6, v7, v5
	v_add_f32_e32 v14, v2, v18
	v_fma_f32 v2, -0.5, v3, v28
	v_sub_f32_e32 v11, v19, v51
	v_add_f32_e32 v3, v4, v6
	v_mov_b32_e32 v6, v2
	v_fmac_f32_e32 v33, v39, v12
	v_sub_f32_e32 v12, v49, v50
	v_fmac_f32_e32 v2, 0xbf737871, v11
	v_fmac_f32_e32 v6, 0x3f737871, v11
	v_add_f32_e32 v8, v9, v7
	v_fmac_f32_e32 v2, 0xbf167918, v12
	v_fmac_f32_e32 v6, 0x3f167918, v12
	v_fma_f32 v4, -0.5, v8, v28
	v_fmac_f32_e32 v2, 0x3e9e377a, v3
	v_fmac_f32_e32 v6, 0x3e9e377a, v3
	v_add_f32_e32 v3, v29, v19
	v_mov_b32_e32 v8, v4
	v_add_f32_e32 v3, v3, v49
	v_fmac_f32_e32 v4, 0x3f737871, v12
	v_fmac_f32_e32 v8, 0xbf737871, v12
	v_add_f32_e32 v3, v3, v50
	v_sub_f32_e32 v10, v18, v9
	v_sub_f32_e32 v13, v5, v7
	v_fmac_f32_e32 v4, 0xbf167918, v11
	v_fmac_f32_e32 v8, 0x3f167918, v11
	v_add_f32_e32 v11, v3, v51
	v_add_f32_e32 v3, v49, v50
	;; [unrolled: 1-line block ×4, first 2 shown]
	v_fma_f32 v3, -0.5, v3, v29
	v_add_f32_e32 v10, v10, v7
	v_sub_f32_e32 v12, v9, v7
	v_mov_b32_e32 v7, v3
	v_fmac_f32_e32 v4, 0x3e9e377a, v13
	v_fmac_f32_e32 v8, 0x3e9e377a, v13
	;; [unrolled: 1-line block ×3, first 2 shown]
	v_sub_f32_e32 v13, v18, v5
	v_sub_f32_e32 v5, v19, v49
	;; [unrolled: 1-line block ×3, first 2 shown]
	v_fmac_f32_e32 v3, 0x3f737871, v12
	v_fmac_f32_e32 v7, 0xbf167918, v13
	v_add_f32_e32 v5, v5, v9
	v_fmac_f32_e32 v3, 0x3f167918, v13
	v_fmac_f32_e32 v7, 0x3e9e377a, v5
	;; [unrolled: 1-line block ×3, first 2 shown]
	v_add_f32_e32 v5, v19, v51
	v_fma_f32 v5, -0.5, v5, v29
	v_mov_b32_e32 v9, v5
	v_fmac_f32_e32 v9, 0x3f737871, v13
	v_sub_f32_e32 v14, v49, v19
	v_sub_f32_e32 v15, v50, v51
	v_fmac_f32_e32 v5, 0xbf737871, v13
	v_fmac_f32_e32 v9, 0xbf167918, v12
	v_add_f32_e32 v14, v14, v15
	v_fmac_f32_e32 v5, 0x3f167918, v12
	v_add_f32_e32 v13, v34, v35
	v_fmac_f32_e32 v37, v47, v16
	v_fmac_f32_e32 v9, 0x3e9e377a, v14
	;; [unrolled: 1-line block ×3, first 2 shown]
	v_fma_f32 v14, -0.5, v13, v30
	v_sub_f32_e32 v13, v32, v37
	v_mov_b32_e32 v16, v14
	v_fmac_f32_e32 v16, 0x3f737871, v13
	v_sub_f32_e32 v15, v33, v36
	v_sub_f32_e32 v18, v17, v34
	;; [unrolled: 1-line block ×3, first 2 shown]
	v_fmac_f32_e32 v14, 0xbf737871, v13
	v_fmac_f32_e32 v16, 0x3f167918, v15
	v_add_f32_e32 v18, v18, v19
	v_fmac_f32_e32 v14, 0xbf167918, v15
	v_fmac_f32_e32 v16, 0x3e9e377a, v18
	;; [unrolled: 1-line block ×3, first 2 shown]
	v_add_f32_e32 v18, v17, v38
	v_add_f32_e32 v12, v30, v17
	v_fma_f32 v30, -0.5, v18, v30
	v_mov_b32_e32 v18, v30
	v_fmac_f32_e32 v18, 0xbf737871, v15
	v_fmac_f32_e32 v30, 0x3f737871, v15
	v_add_f32_e32 v15, v33, v36
	v_sub_f32_e32 v19, v34, v17
	v_sub_f32_e32 v28, v35, v38
	v_fma_f32 v15, -0.5, v15, v31
	v_fmac_f32_e32 v18, 0x3f167918, v13
	v_add_f32_e32 v19, v19, v28
	v_fmac_f32_e32 v30, 0xbf167918, v13
	v_sub_f32_e32 v28, v17, v38
	v_mov_b32_e32 v17, v15
	v_add_f32_e32 v12, v12, v34
	v_fmac_f32_e32 v18, 0x3e9e377a, v19
	v_fmac_f32_e32 v30, 0x3e9e377a, v19
	;; [unrolled: 1-line block ×3, first 2 shown]
	v_sub_f32_e32 v29, v34, v35
	v_sub_f32_e32 v19, v32, v33
	;; [unrolled: 1-line block ×3, first 2 shown]
	v_fmac_f32_e32 v15, 0x3f737871, v28
	v_fmac_f32_e32 v17, 0xbf167918, v29
	v_add_f32_e32 v19, v19, v34
	v_fmac_f32_e32 v15, 0x3f167918, v29
	v_fmac_f32_e32 v17, 0x3e9e377a, v19
	;; [unrolled: 1-line block ×3, first 2 shown]
	v_add_f32_e32 v19, v32, v37
	v_add_f32_e32 v13, v31, v32
	v_fmac_f32_e32 v31, -0.5, v19
	v_add_f32_e32 v13, v13, v33
	v_mov_b32_e32 v19, v31
	v_add_f32_e32 v12, v12, v35
	v_add_f32_e32 v13, v13, v36
	v_fmac_f32_e32 v19, 0x3f737871, v29
	v_sub_f32_e32 v32, v33, v32
	v_sub_f32_e32 v33, v36, v37
	v_fmac_f32_e32 v31, 0xbf737871, v29
	v_add_f32_e32 v12, v12, v38
	v_add_f32_e32 v13, v13, v37
	v_fmac_f32_e32 v19, 0xbf167918, v28
	v_add_f32_e32 v32, v32, v33
	v_fmac_f32_e32 v31, 0x3f167918, v28
	v_fmac_f32_e32 v19, 0x3e9e377a, v32
	v_fmac_f32_e32 v31, 0x3e9e377a, v32
	ds_write2_b64 v27, v[10:11], v[12:13] offset1:176
	ds_write2_b64 v0, v[6:7], v[16:17] offset0:32 offset1:208
	ds_write2_b64 v25, v[8:9], v[18:19] offset0:64 offset1:240
	;; [unrolled: 1-line block ×3, first 2 shown]
	ds_write2_b64 v48, v[2:3], v[14:15] offset1:176
	s_waitcnt lgkmcnt(0)
	s_barrier
	s_and_saveexec_b64 s[4:5], s[0:1]
	s_cbranch_execz .LBB0_25
; %bb.24:
	v_mul_lo_u32 v0, s3, v22
	v_mul_lo_u32 v2, s2, v23
	v_mad_u64_u32 v[6:7], s[0:1], s2, v22, 0
	v_lshl_add_u32 v8, v24, 3, 0
	v_mov_b32_e32 v25, v1
	v_add3_u32 v7, v7, v2, v0
	v_lshlrev_b64 v[6:7], 3, v[6:7]
	v_mov_b32_e32 v0, s11
	v_add_co_u32_e32 v9, vcc, s10, v6
	v_addc_co_u32_e32 v0, vcc, v0, v7, vcc
	v_lshlrev_b64 v[6:7], 3, v[20:21]
	ds_read2_b64 v[2:5], v8 offset1:176
	v_add_co_u32_e32 v9, vcc, v9, v6
	v_addc_co_u32_e32 v10, vcc, v0, v7, vcc
	v_lshlrev_b64 v[6:7], 3, v[24:25]
	v_add_u32_e32 v0, 0xb0, v24
	v_add_co_u32_e32 v6, vcc, v9, v6
	v_addc_co_u32_e32 v7, vcc, v10, v7, vcc
	s_waitcnt lgkmcnt(0)
	global_store_dwordx2 v[6:7], v[2:3], off
	v_lshlrev_b64 v[2:3], 3, v[0:1]
	v_add_u32_e32 v0, 0x160, v24
	v_add_co_u32_e32 v2, vcc, v9, v2
	v_addc_co_u32_e32 v3, vcc, v10, v3, vcc
	global_store_dwordx2 v[2:3], v[4:5], off
	v_add_u32_e32 v2, 0xa00, v8
	ds_read2_b64 v[2:5], v2 offset0:32 offset1:208
	v_lshlrev_b64 v[6:7], 3, v[0:1]
	v_add_u32_e32 v0, 0x210, v24
	v_add_co_u32_e32 v6, vcc, v9, v6
	v_addc_co_u32_e32 v7, vcc, v10, v7, vcc
	s_waitcnt lgkmcnt(0)
	global_store_dwordx2 v[6:7], v[2:3], off
	v_lshlrev_b64 v[2:3], 3, v[0:1]
	v_add_u32_e32 v0, 0x2c0, v24
	v_add_co_u32_e32 v2, vcc, v9, v2
	v_addc_co_u32_e32 v3, vcc, v10, v3, vcc
	global_store_dwordx2 v[2:3], v[4:5], off
	v_add_u32_e32 v2, 0x1400, v8
	ds_read2_b64 v[2:5], v2 offset0:64 offset1:240
	;; [unrolled: 13-line block ×3, first 2 shown]
	v_lshlrev_b64 v[6:7], 3, v[0:1]
	v_add_u32_e32 v0, 0x4d0, v24
	v_add_co_u32_e32 v6, vcc, v9, v6
	v_addc_co_u32_e32 v7, vcc, v10, v7, vcc
	s_waitcnt lgkmcnt(0)
	global_store_dwordx2 v[6:7], v[2:3], off
	v_lshlrev_b64 v[2:3], 3, v[0:1]
	v_add_u32_e32 v0, 0x580, v24
	v_add_co_u32_e32 v2, vcc, v9, v2
	v_addc_co_u32_e32 v3, vcc, v10, v3, vcc
	global_store_dwordx2 v[2:3], v[4:5], off
	v_add_u32_e32 v2, 0x2c00, v8
	v_lshlrev_b64 v[6:7], 3, v[0:1]
	ds_read2_b64 v[2:5], v2 offset1:176
	v_add_u32_e32 v0, 0x630, v24
	v_add_co_u32_e32 v6, vcc, v9, v6
	v_lshlrev_b64 v[0:1], 3, v[0:1]
	v_addc_co_u32_e32 v7, vcc, v10, v7, vcc
	v_add_co_u32_e32 v0, vcc, v9, v0
	v_addc_co_u32_e32 v1, vcc, v10, v1, vcc
	s_waitcnt lgkmcnt(0)
	global_store_dwordx2 v[6:7], v[2:3], off
	global_store_dwordx2 v[0:1], v[4:5], off
.LBB0_25:
	s_endpgm
	.section	.rodata,"a",@progbits
	.p2align	6, 0x0
	.amdhsa_kernel fft_rtc_fwd_len1760_factors_2_2_2_2_2_11_5_wgs_176_tpt_176_halfLds_sp_op_CI_CI_unitstride_sbrr_C2R_dirReg
		.amdhsa_group_segment_fixed_size 0
		.amdhsa_private_segment_fixed_size 0
		.amdhsa_kernarg_size 104
		.amdhsa_user_sgpr_count 6
		.amdhsa_user_sgpr_private_segment_buffer 1
		.amdhsa_user_sgpr_dispatch_ptr 0
		.amdhsa_user_sgpr_queue_ptr 0
		.amdhsa_user_sgpr_kernarg_segment_ptr 1
		.amdhsa_user_sgpr_dispatch_id 0
		.amdhsa_user_sgpr_flat_scratch_init 0
		.amdhsa_user_sgpr_private_segment_size 0
		.amdhsa_uses_dynamic_stack 0
		.amdhsa_system_sgpr_private_segment_wavefront_offset 0
		.amdhsa_system_sgpr_workgroup_id_x 1
		.amdhsa_system_sgpr_workgroup_id_y 0
		.amdhsa_system_sgpr_workgroup_id_z 0
		.amdhsa_system_sgpr_workgroup_info 0
		.amdhsa_system_vgpr_workitem_id 0
		.amdhsa_next_free_vgpr 82
		.amdhsa_next_free_sgpr 28
		.amdhsa_reserve_vcc 1
		.amdhsa_reserve_flat_scratch 0
		.amdhsa_float_round_mode_32 0
		.amdhsa_float_round_mode_16_64 0
		.amdhsa_float_denorm_mode_32 3
		.amdhsa_float_denorm_mode_16_64 3
		.amdhsa_dx10_clamp 1
		.amdhsa_ieee_mode 1
		.amdhsa_fp16_overflow 0
		.amdhsa_exception_fp_ieee_invalid_op 0
		.amdhsa_exception_fp_denorm_src 0
		.amdhsa_exception_fp_ieee_div_zero 0
		.amdhsa_exception_fp_ieee_overflow 0
		.amdhsa_exception_fp_ieee_underflow 0
		.amdhsa_exception_fp_ieee_inexact 0
		.amdhsa_exception_int_div_zero 0
	.end_amdhsa_kernel
	.text
.Lfunc_end0:
	.size	fft_rtc_fwd_len1760_factors_2_2_2_2_2_11_5_wgs_176_tpt_176_halfLds_sp_op_CI_CI_unitstride_sbrr_C2R_dirReg, .Lfunc_end0-fft_rtc_fwd_len1760_factors_2_2_2_2_2_11_5_wgs_176_tpt_176_halfLds_sp_op_CI_CI_unitstride_sbrr_C2R_dirReg
                                        ; -- End function
	.section	.AMDGPU.csdata,"",@progbits
; Kernel info:
; codeLenInByte = 8372
; NumSgprs: 32
; NumVgprs: 82
; ScratchSize: 0
; MemoryBound: 0
; FloatMode: 240
; IeeeMode: 1
; LDSByteSize: 0 bytes/workgroup (compile time only)
; SGPRBlocks: 3
; VGPRBlocks: 20
; NumSGPRsForWavesPerEU: 32
; NumVGPRsForWavesPerEU: 82
; Occupancy: 3
; WaveLimiterHint : 1
; COMPUTE_PGM_RSRC2:SCRATCH_EN: 0
; COMPUTE_PGM_RSRC2:USER_SGPR: 6
; COMPUTE_PGM_RSRC2:TRAP_HANDLER: 0
; COMPUTE_PGM_RSRC2:TGID_X_EN: 1
; COMPUTE_PGM_RSRC2:TGID_Y_EN: 0
; COMPUTE_PGM_RSRC2:TGID_Z_EN: 0
; COMPUTE_PGM_RSRC2:TIDIG_COMP_CNT: 0
	.type	__hip_cuid_1f567dc23c38e9b5,@object ; @__hip_cuid_1f567dc23c38e9b5
	.section	.bss,"aw",@nobits
	.globl	__hip_cuid_1f567dc23c38e9b5
__hip_cuid_1f567dc23c38e9b5:
	.byte	0                               ; 0x0
	.size	__hip_cuid_1f567dc23c38e9b5, 1

	.ident	"AMD clang version 19.0.0git (https://github.com/RadeonOpenCompute/llvm-project roc-6.4.0 25133 c7fe45cf4b819c5991fe208aaa96edf142730f1d)"
	.section	".note.GNU-stack","",@progbits
	.addrsig
	.addrsig_sym __hip_cuid_1f567dc23c38e9b5
	.amdgpu_metadata
---
amdhsa.kernels:
  - .args:
      - .actual_access:  read_only
        .address_space:  global
        .offset:         0
        .size:           8
        .value_kind:     global_buffer
      - .offset:         8
        .size:           8
        .value_kind:     by_value
      - .actual_access:  read_only
        .address_space:  global
        .offset:         16
        .size:           8
        .value_kind:     global_buffer
      - .actual_access:  read_only
        .address_space:  global
        .offset:         24
        .size:           8
        .value_kind:     global_buffer
      - .actual_access:  read_only
        .address_space:  global
        .offset:         32
        .size:           8
        .value_kind:     global_buffer
      - .offset:         40
        .size:           8
        .value_kind:     by_value
      - .actual_access:  read_only
        .address_space:  global
        .offset:         48
        .size:           8
        .value_kind:     global_buffer
      - .actual_access:  read_only
        .address_space:  global
        .offset:         56
        .size:           8
        .value_kind:     global_buffer
      - .offset:         64
        .size:           4
        .value_kind:     by_value
      - .actual_access:  read_only
        .address_space:  global
        .offset:         72
        .size:           8
        .value_kind:     global_buffer
      - .actual_access:  read_only
        .address_space:  global
        .offset:         80
        .size:           8
        .value_kind:     global_buffer
      - .actual_access:  read_only
        .address_space:  global
        .offset:         88
        .size:           8
        .value_kind:     global_buffer
      - .actual_access:  write_only
        .address_space:  global
        .offset:         96
        .size:           8
        .value_kind:     global_buffer
    .group_segment_fixed_size: 0
    .kernarg_segment_align: 8
    .kernarg_segment_size: 104
    .language:       OpenCL C
    .language_version:
      - 2
      - 0
    .max_flat_workgroup_size: 176
    .name:           fft_rtc_fwd_len1760_factors_2_2_2_2_2_11_5_wgs_176_tpt_176_halfLds_sp_op_CI_CI_unitstride_sbrr_C2R_dirReg
    .private_segment_fixed_size: 0
    .sgpr_count:     32
    .sgpr_spill_count: 0
    .symbol:         fft_rtc_fwd_len1760_factors_2_2_2_2_2_11_5_wgs_176_tpt_176_halfLds_sp_op_CI_CI_unitstride_sbrr_C2R_dirReg.kd
    .uniform_work_group_size: 1
    .uses_dynamic_stack: false
    .vgpr_count:     82
    .vgpr_spill_count: 0
    .wavefront_size: 64
amdhsa.target:   amdgcn-amd-amdhsa--gfx906
amdhsa.version:
  - 1
  - 2
...

	.end_amdgpu_metadata
